;; amdgpu-corpus repo=ROCm/rocFFT kind=compiled arch=gfx950 opt=O3
	.text
	.amdgcn_target "amdgcn-amd-amdhsa--gfx950"
	.amdhsa_code_object_version 6
	.protected	fft_rtc_back_len320_factors_10_4_4_2_wgs_64_tpt_16_halfLds_dp_ip_CI_unitstride_sbrr_C2R_dirReg ; -- Begin function fft_rtc_back_len320_factors_10_4_4_2_wgs_64_tpt_16_halfLds_dp_ip_CI_unitstride_sbrr_C2R_dirReg
	.globl	fft_rtc_back_len320_factors_10_4_4_2_wgs_64_tpt_16_halfLds_dp_ip_CI_unitstride_sbrr_C2R_dirReg
	.p2align	8
	.type	fft_rtc_back_len320_factors_10_4_4_2_wgs_64_tpt_16_halfLds_dp_ip_CI_unitstride_sbrr_C2R_dirReg,@function
fft_rtc_back_len320_factors_10_4_4_2_wgs_64_tpt_16_halfLds_dp_ip_CI_unitstride_sbrr_C2R_dirReg: ; @fft_rtc_back_len320_factors_10_4_4_2_wgs_64_tpt_16_halfLds_dp_ip_CI_unitstride_sbrr_C2R_dirReg
; %bb.0:
	s_load_dwordx2 s[8:9], s[0:1], 0x50
	s_load_dwordx4 s[4:7], s[0:1], 0x0
	s_load_dwordx2 s[10:11], s[0:1], 0x18
	v_lshrrev_b32_e32 v1, 4, v0
	v_lshl_or_b32 v6, s2, 2, v1
	v_mov_b32_e32 v4, 0
	s_waitcnt lgkmcnt(0)
	v_cmp_lt_u64_e64 s[2:3], s[6:7], 2
	v_mov_b32_e32 v7, v4
	s_and_b64 vcc, exec, s[2:3]
	v_mov_b64_e32 v[2:3], 0
	s_cbranch_vccnz .LBB0_8
; %bb.1:
	s_load_dwordx2 s[2:3], s[0:1], 0x10
	s_add_u32 s12, s10, 8
	s_addc_u32 s13, s11, 0
	s_mov_b64 s[14:15], 1
	v_mov_b64_e32 v[2:3], 0
	s_waitcnt lgkmcnt(0)
	s_add_u32 s16, s2, 8
	s_addc_u32 s17, s3, 0
.LBB0_2:                                ; =>This Inner Loop Header: Depth=1
	s_load_dwordx2 s[18:19], s[16:17], 0x0
                                        ; implicit-def: $vgpr8_vgpr9
	s_waitcnt lgkmcnt(0)
	v_or_b32_e32 v5, s19, v7
	v_cmp_ne_u64_e32 vcc, 0, v[4:5]
	s_and_saveexec_b64 s[2:3], vcc
	s_xor_b64 s[20:21], exec, s[2:3]
	s_cbranch_execz .LBB0_4
; %bb.3:                                ;   in Loop: Header=BB0_2 Depth=1
	v_cvt_f32_u32_e32 v5, s18
	v_cvt_f32_u32_e32 v8, s19
	s_sub_u32 s2, 0, s18
	s_subb_u32 s3, 0, s19
	v_fmac_f32_e32 v5, 0x4f800000, v8
	v_rcp_f32_e32 v5, v5
	s_nop 0
	v_mul_f32_e32 v5, 0x5f7ffffc, v5
	v_mul_f32_e32 v8, 0x2f800000, v5
	v_trunc_f32_e32 v8, v8
	v_fmac_f32_e32 v5, 0xcf800000, v8
	v_cvt_u32_f32_e32 v12, v8
	v_cvt_u32_f32_e32 v5, v5
	v_mul_lo_u32 v8, s2, v12
	v_mul_hi_u32 v10, s2, v5
	v_mul_lo_u32 v9, s3, v5
	v_add_u32_e32 v10, v10, v8
	v_mul_lo_u32 v13, s2, v5
	v_add_u32_e32 v14, v10, v9
	v_mul_hi_u32 v8, v5, v13
	v_mul_hi_u32 v11, v5, v14
	v_mul_lo_u32 v10, v5, v14
	v_mov_b32_e32 v9, v4
	v_lshl_add_u64 v[8:9], v[8:9], 0, v[10:11]
	v_mul_hi_u32 v11, v12, v13
	v_mul_lo_u32 v13, v12, v13
	v_add_co_u32_e32 v8, vcc, v8, v13
	v_mul_hi_u32 v10, v12, v14
	s_nop 0
	v_addc_co_u32_e32 v8, vcc, v9, v11, vcc
	v_mov_b32_e32 v9, v4
	s_nop 0
	v_addc_co_u32_e32 v11, vcc, 0, v10, vcc
	v_mul_lo_u32 v10, v12, v14
	v_lshl_add_u64 v[8:9], v[8:9], 0, v[10:11]
	v_add_co_u32_e32 v5, vcc, v5, v8
	v_mul_lo_u32 v10, s2, v5
	s_nop 0
	v_addc_co_u32_e32 v12, vcc, v12, v9, vcc
	v_mul_lo_u32 v8, s2, v12
	v_mul_hi_u32 v9, s2, v5
	v_add_u32_e32 v8, v9, v8
	v_mul_lo_u32 v9, s3, v5
	v_add_u32_e32 v13, v8, v9
	v_mul_hi_u32 v15, v12, v10
	v_mul_lo_u32 v16, v12, v10
	v_mul_hi_u32 v9, v5, v13
	v_mul_lo_u32 v8, v5, v13
	v_mul_hi_u32 v10, v5, v10
	v_mov_b32_e32 v11, v4
	v_lshl_add_u64 v[8:9], v[10:11], 0, v[8:9]
	v_add_co_u32_e32 v8, vcc, v8, v16
	v_mul_hi_u32 v14, v12, v13
	s_nop 0
	v_addc_co_u32_e32 v8, vcc, v9, v15, vcc
	v_mul_lo_u32 v10, v12, v13
	s_nop 0
	v_addc_co_u32_e32 v11, vcc, 0, v14, vcc
	v_mov_b32_e32 v9, v4
	v_lshl_add_u64 v[8:9], v[8:9], 0, v[10:11]
	v_add_co_u32_e32 v5, vcc, v5, v8
	v_mul_hi_u32 v10, v6, v5
	s_nop 0
	v_addc_co_u32_e32 v12, vcc, v12, v9, vcc
	v_mad_u64_u32 v[8:9], s[2:3], v6, v12, 0
	v_mov_b32_e32 v11, v4
	v_lshl_add_u64 v[8:9], v[10:11], 0, v[8:9]
	v_mad_u64_u32 v[10:11], s[2:3], v7, v12, 0
	v_mad_u64_u32 v[12:13], s[2:3], v7, v5, 0
	v_add_co_u32_e32 v5, vcc, v8, v12
	s_nop 1
	v_addc_co_u32_e32 v8, vcc, v9, v13, vcc
	v_mov_b32_e32 v9, v4
	s_nop 0
	v_addc_co_u32_e32 v11, vcc, 0, v11, vcc
	v_lshl_add_u64 v[8:9], v[8:9], 0, v[10:11]
	v_mul_lo_u32 v5, s19, v8
	v_mul_lo_u32 v12, s18, v9
	v_mad_u64_u32 v[10:11], s[2:3], s18, v8, 0
	v_add3_u32 v5, v11, v12, v5
	v_sub_u32_e32 v11, v7, v5
	v_mov_b32_e32 v12, s19
	v_sub_co_u32_e32 v14, vcc, v6, v10
	s_nop 1
	v_subb_co_u32_e64 v10, s[2:3], v11, v12, vcc
	v_subrev_co_u32_e64 v11, s[2:3], s18, v14
	v_subb_co_u32_e32 v5, vcc, v7, v5, vcc
	s_nop 0
	v_subbrev_co_u32_e64 v10, s[2:3], 0, v10, s[2:3]
	v_cmp_le_u32_e64 s[2:3], s19, v10
	v_cmp_le_u32_e32 vcc, s19, v5
	s_nop 0
	v_cndmask_b32_e64 v12, 0, -1, s[2:3]
	v_cmp_le_u32_e64 s[2:3], s18, v11
	s_nop 1
	v_cndmask_b32_e64 v11, 0, -1, s[2:3]
	v_cmp_eq_u32_e64 s[2:3], s19, v10
	s_nop 1
	v_cndmask_b32_e64 v15, v12, v11, s[2:3]
	v_lshl_add_u64 v[10:11], v[8:9], 0, 2
	v_lshl_add_u64 v[12:13], v[8:9], 0, 1
	v_cmp_ne_u32_e64 s[2:3], 0, v15
	s_nop 1
	v_cndmask_b32_e64 v11, v13, v11, s[2:3]
	v_cndmask_b32_e64 v13, 0, -1, vcc
	v_cmp_le_u32_e32 vcc, s18, v14
	s_nop 1
	v_cndmask_b32_e64 v14, 0, -1, vcc
	v_cmp_eq_u32_e32 vcc, s19, v5
	s_nop 1
	v_cndmask_b32_e32 v5, v13, v14, vcc
	v_cmp_ne_u32_e32 vcc, 0, v5
	v_cndmask_b32_e64 v5, v12, v10, s[2:3]
	s_nop 0
	v_cndmask_b32_e32 v9, v9, v11, vcc
	v_cndmask_b32_e32 v8, v8, v5, vcc
.LBB0_4:                                ;   in Loop: Header=BB0_2 Depth=1
	s_andn2_saveexec_b64 s[2:3], s[20:21]
	s_cbranch_execz .LBB0_6
; %bb.5:                                ;   in Loop: Header=BB0_2 Depth=1
	v_cvt_f32_u32_e32 v5, s18
	s_sub_i32 s20, 0, s18
	v_rcp_iflag_f32_e32 v5, v5
	s_nop 0
	v_mul_f32_e32 v5, 0x4f7ffffe, v5
	v_cvt_u32_f32_e32 v5, v5
	v_mul_lo_u32 v8, s20, v5
	v_mul_hi_u32 v8, v5, v8
	v_add_u32_e32 v5, v5, v8
	v_mul_hi_u32 v5, v6, v5
	v_mul_lo_u32 v8, v5, s18
	v_sub_u32_e32 v8, v6, v8
	v_add_u32_e32 v9, 1, v5
	v_subrev_u32_e32 v10, s18, v8
	v_cmp_le_u32_e32 vcc, s18, v8
	s_nop 1
	v_cndmask_b32_e32 v8, v8, v10, vcc
	v_cndmask_b32_e32 v5, v5, v9, vcc
	v_add_u32_e32 v9, 1, v5
	v_cmp_le_u32_e32 vcc, s18, v8
	s_nop 1
	v_cndmask_b32_e32 v8, v5, v9, vcc
	v_mov_b32_e32 v9, v4
.LBB0_6:                                ;   in Loop: Header=BB0_2 Depth=1
	s_or_b64 exec, exec, s[2:3]
	v_mad_u64_u32 v[10:11], s[2:3], v8, s18, 0
	s_load_dwordx2 s[2:3], s[12:13], 0x0
	v_mul_lo_u32 v5, v9, s18
	v_mul_lo_u32 v12, v8, s19
	v_add3_u32 v5, v11, v12, v5
	v_sub_co_u32_e32 v6, vcc, v6, v10
	s_add_u32 s14, s14, 1
	s_nop 0
	v_subb_co_u32_e32 v5, vcc, v7, v5, vcc
	s_addc_u32 s15, s15, 0
	s_waitcnt lgkmcnt(0)
	v_mul_lo_u32 v5, s2, v5
	v_mul_lo_u32 v7, s3, v6
	v_mad_u64_u32 v[2:3], s[2:3], s2, v6, v[2:3]
	s_add_u32 s12, s12, 8
	v_add3_u32 v3, v7, v3, v5
	s_addc_u32 s13, s13, 0
	v_mov_b64_e32 v[6:7], s[6:7]
	s_add_u32 s16, s16, 8
	v_cmp_ge_u64_e32 vcc, s[14:15], v[6:7]
	s_addc_u32 s17, s17, 0
	s_cbranch_vccnz .LBB0_9
; %bb.7:                                ;   in Loop: Header=BB0_2 Depth=1
	v_mov_b64_e32 v[6:7], v[8:9]
	s_branch .LBB0_2
.LBB0_8:
	v_mov_b64_e32 v[8:9], v[6:7]
.LBB0_9:
	s_lshl_b64 s[2:3], s[6:7], 3
	s_add_u32 s2, s10, s2
	s_addc_u32 s3, s11, s3
	s_load_dwordx2 s[6:7], s[2:3], 0x0
	s_load_dwordx2 s[10:11], s[0:1], 0x20
	s_waitcnt lgkmcnt(0)
	v_mul_lo_u32 v4, s6, v9
	v_mul_lo_u32 v5, s7, v8
	v_mad_u64_u32 v[6:7], s[0:1], s6, v8, v[2:3]
	v_add3_u32 v7, v5, v7, v4
	v_mul_u32_u24_e32 v2, 0x141, v1
	v_and_b32_e32 v4, 15, v0
	v_cmp_gt_u64_e64 s[0:1], s[10:11], v[8:9]
	v_mov_b32_e32 v1, 0
	v_lshl_add_u64 v[80:81], v[6:7], 4, s[8:9]
	v_lshlrev_b32_e32 v106, 4, v2
	v_mov_b32_e32 v82, v4
	s_and_saveexec_b64 s[2:3], s[0:1]
	s_cbranch_execz .LBB0_13
; %bb.10:
	v_lshlrev_b32_e32 v0, 4, v4
	v_mov_b32_e32 v73, v1
	v_or_b32_e32 v72, 0x1000, v0
	v_lshl_add_u64 v[70:71], v[80:81], 0, v[0:1]
	v_mov_b32_e32 v75, v1
	v_mov_b32_e32 v77, v1
	v_add3_u32 v3, 0, v106, v0
	v_or_b32_e32 v74, 0x1100, v0
	v_or_b32_e32 v76, 0x1200, v0
	;; [unrolled: 1-line block ×3, first 2 shown]
	v_lshl_add_u64 v[78:79], v[80:81], 0, v[72:73]
	global_load_dwordx4 v[6:9], v[70:71], off
	global_load_dwordx4 v[10:13], v[70:71], off offset:256
	global_load_dwordx4 v[14:17], v[70:71], off offset:512
	;; [unrolled: 1-line block ×15, first 2 shown]
	v_lshl_add_u64 v[90:91], v[80:81], 0, v[74:75]
	v_lshl_add_u64 v[92:93], v[80:81], 0, v[76:77]
	;; [unrolled: 1-line block ×3, first 2 shown]
	global_load_dwordx4 v[70:73], v[78:79], off
	global_load_dwordx4 v[74:77], v[90:91], off
	;; [unrolled: 1-line block ×4, first 2 shown]
	v_cmp_eq_u32_e32 vcc, 15, v4
	v_mov_b64_e32 v[0:1], v[4:5]
	s_waitcnt vmcnt(19)
	ds_write_b128 v3, v[6:9]
	s_waitcnt vmcnt(18)
	ds_write_b128 v3, v[10:13] offset:256
	s_waitcnt vmcnt(17)
	ds_write_b128 v3, v[14:17] offset:512
	;; [unrolled: 2-line block ×19, first 2 shown]
	s_and_saveexec_b64 s[6:7], vcc
	s_cbranch_execz .LBB0_12
; %bb.11:
	v_add_co_u32_e32 v0, vcc, 0x1000, v80
	v_mov_b32_e32 v4, 15
	s_nop 0
	v_addc_co_u32_e32 v1, vcc, 0, v81, vcc
	global_load_dwordx4 v[6:9], v[0:1], off offset:1024
	v_mov_b64_e32 v[0:1], 15
	s_waitcnt vmcnt(0)
	ds_write_b128 v3, v[6:9] offset:4880
.LBB0_12:
	s_or_b64 exec, exec, s[6:7]
	v_mov_b32_e32 v82, v4
	v_mov_b64_e32 v[4:5], v[0:1]
.LBB0_13:
	s_or_b64 exec, exec, s[2:3]
	v_lshl_add_u32 v83, v2, 4, 0
	v_lshlrev_b32_e32 v84, 4, v82
	v_add_u32_e32 v104, v83, v84
	s_waitcnt lgkmcnt(0)
	; wave barrier
	s_waitcnt lgkmcnt(0)
	v_sub_u32_e32 v20, v83, v84
	ds_read_b64 v[6:7], v104
	ds_read_b64 v[8:9], v20 offset:5120
	s_add_u32 s2, s4, 0x1360
	s_addc_u32 s3, s5, 0
	v_cmp_ne_u32_e32 vcc, 0, v82
	v_lshlrev_b32_e32 v105, 4, v4
	s_waitcnt lgkmcnt(0)
	v_add_f64 v[0:1], v[6:7], v[8:9]
	v_add_f64 v[2:3], v[6:7], -v[8:9]
	s_and_saveexec_b64 s[6:7], vcc
	s_xor_b64 s[6:7], exec, s[6:7]
	s_cbranch_execz .LBB0_15
; %bb.14:
	global_load_dwordx4 v[10:13], v105, s[2:3]
	ds_read_b64 v[0:1], v20 offset:5128
	ds_read_b64 v[2:3], v104 offset:8
	v_add_f64 v[4:5], v[6:7], v[8:9]
	v_add_f64 v[8:9], v[6:7], -v[8:9]
	s_waitcnt lgkmcnt(0)
	v_add_f64 v[14:15], v[0:1], v[2:3]
	v_add_f64 v[0:1], v[2:3], -v[0:1]
	s_waitcnt vmcnt(0)
	v_fma_f64 v[16:17], v[8:9], v[12:13], v[4:5]
	v_fma_f64 v[4:5], -v[8:9], v[12:13], v[4:5]
	v_fma_f64 v[6:7], v[14:15], v[12:13], -v[0:1]
	v_fma_f64 v[2:3], v[14:15], v[12:13], v[0:1]
	v_fmac_f64_e32 v[4:5], v[14:15], v[10:11]
	v_fmac_f64_e32 v[6:7], v[8:9], v[10:11]
	v_fma_f64 v[0:1], -v[14:15], v[10:11], v[16:17]
	v_fmac_f64_e32 v[2:3], v[8:9], v[10:11]
	ds_write_b128 v20, v[4:7] offset:5120
.LBB0_15:
	s_andn2_saveexec_b64 s[6:7], s[6:7]
	s_cbranch_execz .LBB0_17
; %bb.16:
	ds_read_b128 v[4:7], v83 offset:2560
	s_waitcnt lgkmcnt(0)
	v_add_f64 v[4:5], v[4:5], v[4:5]
	v_mul_f64 v[6:7], v[6:7], -2.0
	ds_write_b128 v83, v[4:7] offset:2560
.LBB0_17:
	s_or_b64 exec, exec, s[6:7]
	global_load_dwordx4 v[12:15], v84, s[2:3] offset:256
	global_load_dwordx4 v[16:19], v84, s[2:3] offset:512
	;; [unrolled: 1-line block ×4, first 2 shown]
	ds_write_b128 v104, v[0:3]
	ds_read_b128 v[22:25], v104 offset:256
	ds_read_b128 v[26:29], v20 offset:4864
	global_load_dwordx4 v[0:3], v84, s[2:3] offset:1280
	v_add3_u32 v107, 0, v84, v106
	s_mov_b32 s8, 0x134454ff
	s_mov_b32 s9, 0xbfee6f0e
	s_waitcnt lgkmcnt(0)
	v_add_f64 v[30:31], v[22:23], v[26:27]
	v_add_f64 v[32:33], v[28:29], v[24:25]
	v_add_f64 v[34:35], v[22:23], -v[26:27]
	v_add_f64 v[22:23], v[24:25], -v[28:29]
	s_mov_b32 s10, 0x4755a5e
	s_mov_b32 s7, 0x3fee6f0e
	;; [unrolled: 1-line block ×12, first 2 shown]
	v_cmp_gt_u32_e32 vcc, 10, v82
	v_mov_b32_e32 v85, 0
	s_waitcnt vmcnt(4)
	v_fma_f64 v[36:37], v[34:35], v[14:15], v[30:31]
	v_fma_f64 v[24:25], v[32:33], v[14:15], v[22:23]
	v_fma_f64 v[26:27], -v[34:35], v[14:15], v[30:31]
	v_fma_f64 v[28:29], v[32:33], v[14:15], -v[22:23]
	v_fma_f64 v[22:23], -v[32:33], v[12:13], v[36:37]
	v_fmac_f64_e32 v[24:25], v[34:35], v[12:13]
	v_fmac_f64_e32 v[26:27], v[32:33], v[12:13]
	v_fmac_f64_e32 v[28:29], v[34:35], v[12:13]
	ds_write_b128 v104, v[22:25] offset:256
	ds_write_b128 v20, v[26:29] offset:4864
	ds_read_b128 v[22:25], v104 offset:512
	ds_read_b128 v[26:29], v20 offset:4608
	global_load_dwordx4 v[12:15], v84, s[2:3] offset:1536
	s_waitcnt lgkmcnt(0)
	v_add_f64 v[30:31], v[22:23], v[26:27]
	v_add_f64 v[32:33], v[28:29], v[24:25]
	v_add_f64 v[34:35], v[22:23], -v[26:27]
	v_add_f64 v[22:23], v[24:25], -v[28:29]
	s_waitcnt vmcnt(4)
	v_fma_f64 v[36:37], v[34:35], v[18:19], v[30:31]
	v_fma_f64 v[24:25], v[32:33], v[18:19], v[22:23]
	v_fma_f64 v[26:27], -v[34:35], v[18:19], v[30:31]
	v_fma_f64 v[28:29], v[32:33], v[18:19], -v[22:23]
	v_fma_f64 v[22:23], -v[32:33], v[16:17], v[36:37]
	v_fmac_f64_e32 v[24:25], v[34:35], v[16:17]
	v_fmac_f64_e32 v[26:27], v[32:33], v[16:17]
	v_fmac_f64_e32 v[28:29], v[34:35], v[16:17]
	ds_write_b128 v104, v[22:25] offset:512
	ds_write_b128 v20, v[26:29] offset:4608
	ds_read_b128 v[22:25], v104 offset:768
	ds_read_b128 v[26:29], v20 offset:4352
	global_load_dwordx4 v[16:19], v84, s[2:3] offset:1792
	s_waitcnt lgkmcnt(0)
	v_add_f64 v[30:31], v[22:23], v[26:27]
	v_add_f64 v[32:33], v[28:29], v[24:25]
	v_add_f64 v[34:35], v[22:23], -v[26:27]
	v_add_f64 v[22:23], v[24:25], -v[28:29]
	;; [unrolled: 19-line block ×3, first 2 shown]
	s_waitcnt vmcnt(4)
	v_fma_f64 v[36:37], v[34:35], v[6:7], v[30:31]
	v_fma_f64 v[8:9], v[32:33], v[6:7], v[10:11]
	v_fma_f64 v[22:23], -v[34:35], v[6:7], v[30:31]
	v_fma_f64 v[24:25], v[32:33], v[6:7], -v[10:11]
	v_fma_f64 v[6:7], -v[32:33], v[4:5], v[36:37]
	v_fmac_f64_e32 v[8:9], v[34:35], v[4:5]
	v_fmac_f64_e32 v[22:23], v[32:33], v[4:5]
	v_fmac_f64_e32 v[24:25], v[34:35], v[4:5]
	ds_write_b128 v104, v[6:9] offset:1024
	ds_write_b128 v20, v[22:25] offset:4096
	ds_read_b128 v[4:7], v104 offset:1280
	ds_read_b128 v[8:11], v20 offset:3840
	global_load_dwordx4 v[22:25], v84, s[2:3] offset:2304
	s_mov_b32 s3, 0x3fe2cf23
	s_mov_b32 s2, s10
	s_waitcnt lgkmcnt(0)
	v_add_f64 v[30:31], v[4:5], v[8:9]
	v_add_f64 v[32:33], v[10:11], v[6:7]
	v_add_f64 v[34:35], v[4:5], -v[8:9]
	v_add_f64 v[8:9], v[6:7], -v[10:11]
	s_waitcnt vmcnt(4)
	v_fma_f64 v[10:11], v[34:35], v[2:3], v[30:31]
	v_fma_f64 v[4:5], v[32:33], v[2:3], v[8:9]
	v_fma_f64 v[6:7], -v[34:35], v[2:3], v[30:31]
	v_fma_f64 v[8:9], v[32:33], v[2:3], -v[8:9]
	v_fma_f64 v[2:3], -v[32:33], v[0:1], v[10:11]
	v_fmac_f64_e32 v[4:5], v[34:35], v[0:1]
	v_fmac_f64_e32 v[6:7], v[32:33], v[0:1]
	v_fmac_f64_e32 v[8:9], v[34:35], v[0:1]
	ds_write_b128 v104, v[2:5] offset:1280
	ds_write_b128 v20, v[6:9] offset:3840
	ds_read_b128 v[0:3], v104 offset:1536
	ds_read_b128 v[4:7], v20 offset:3584
	s_waitcnt lgkmcnt(0)
	v_add_f64 v[8:9], v[0:1], v[4:5]
	v_add_f64 v[10:11], v[6:7], v[2:3]
	v_add_f64 v[30:31], v[0:1], -v[4:5]
	v_add_f64 v[0:1], v[2:3], -v[6:7]
	s_waitcnt vmcnt(3)
	v_fma_f64 v[32:33], v[30:31], v[14:15], v[8:9]
	v_fma_f64 v[2:3], v[10:11], v[14:15], v[0:1]
	v_fma_f64 v[4:5], -v[30:31], v[14:15], v[8:9]
	v_fma_f64 v[6:7], v[10:11], v[14:15], -v[0:1]
	v_fma_f64 v[0:1], -v[10:11], v[12:13], v[32:33]
	v_fmac_f64_e32 v[2:3], v[30:31], v[12:13]
	v_fmac_f64_e32 v[4:5], v[10:11], v[12:13]
	v_fmac_f64_e32 v[6:7], v[30:31], v[12:13]
	ds_write_b128 v104, v[0:3] offset:1536
	ds_write_b128 v20, v[4:7] offset:3584
	ds_read_b128 v[0:3], v104 offset:1792
	ds_read_b128 v[4:7], v20 offset:3328
	;; [unrolled: 18-line block ×4, first 2 shown]
	s_waitcnt lgkmcnt(0)
	v_add_f64 v[8:9], v[0:1], v[4:5]
	v_add_f64 v[10:11], v[6:7], v[2:3]
	v_add_f64 v[12:13], v[0:1], -v[4:5]
	v_add_f64 v[0:1], v[2:3], -v[6:7]
	s_waitcnt vmcnt(0)
	v_fma_f64 v[14:15], v[12:13], v[24:25], v[8:9]
	v_fma_f64 v[2:3], v[10:11], v[24:25], v[0:1]
	v_fma_f64 v[4:5], -v[12:13], v[24:25], v[8:9]
	v_fma_f64 v[6:7], v[10:11], v[24:25], -v[0:1]
	v_fma_f64 v[0:1], -v[10:11], v[22:23], v[14:15]
	v_fmac_f64_e32 v[2:3], v[12:13], v[22:23]
	v_fmac_f64_e32 v[4:5], v[10:11], v[22:23]
	;; [unrolled: 1-line block ×3, first 2 shown]
	ds_write_b128 v104, v[0:3] offset:2304
	ds_write_b128 v20, v[4:7] offset:2816
	s_waitcnt lgkmcnt(0)
	; wave barrier
	s_waitcnt lgkmcnt(0)
	s_waitcnt lgkmcnt(0)
	; wave barrier
	s_waitcnt lgkmcnt(0)
	ds_read_b128 v[56:59], v104
	ds_read_b128 v[0:3], v107 offset:256
	ds_read_b128 v[44:47], v107 offset:512
	;; [unrolled: 1-line block ×19, first 2 shown]
	s_waitcnt lgkmcnt(7)
	v_add_f64 v[62:63], v[48:49], v[52:53]
	v_fma_f64 v[62:63], -0.5, v[62:63], v[56:57]
	s_waitcnt lgkmcnt(3)
	v_add_f64 v[86:87], v[34:35], -v[98:99]
	v_fma_f64 v[88:89], s[8:9], v[86:87], v[62:63]
	v_add_f64 v[90:91], v[50:51], -v[54:55]
	v_add_f64 v[92:93], v[32:33], -v[48:49]
	;; [unrolled: 1-line block ×3, first 2 shown]
	v_fmac_f64_e32 v[62:63], s[6:7], v[86:87]
	v_fmac_f64_e32 v[88:89], s[10:11], v[90:91]
	v_add_f64 v[92:93], v[92:93], v[94:95]
	v_fmac_f64_e32 v[62:63], s[2:3], v[90:91]
	v_fmac_f64_e32 v[88:89], s[12:13], v[92:93]
	;; [unrolled: 1-line block ×3, first 2 shown]
	v_add_f64 v[92:93], v[32:33], v[96:97]
	v_add_f64 v[60:61], v[56:57], v[32:33]
	v_fmac_f64_e32 v[56:57], -0.5, v[92:93]
	v_fma_f64 v[94:95], s[6:7], v[90:91], v[56:57]
	v_fmac_f64_e32 v[56:57], s[8:9], v[90:91]
	v_fmac_f64_e32 v[94:95], s[10:11], v[86:87]
	v_fmac_f64_e32 v[56:57], s[2:3], v[86:87]
	v_add_f64 v[86:87], v[58:59], v[34:35]
	v_add_f64 v[86:87], v[86:87], v[50:51]
	;; [unrolled: 1-line block ×4, first 2 shown]
	v_add_f64 v[92:93], v[48:49], -v[32:33]
	v_add_f64 v[100:101], v[52:53], -v[96:97]
	v_add_f64 v[90:91], v[86:87], v[98:99]
	v_add_f64 v[86:87], v[50:51], v[54:55]
	;; [unrolled: 1-line block ×4, first 2 shown]
	v_fma_f64 v[86:87], -0.5, v[86:87], v[58:59]
	v_add_f64 v[32:33], v[32:33], -v[96:97]
	v_add_f64 v[60:61], v[60:61], v[96:97]
	v_fmac_f64_e32 v[94:95], s[12:13], v[92:93]
	v_fmac_f64_e32 v[56:57], s[12:13], v[92:93]
	v_fma_f64 v[92:93], s[6:7], v[32:33], v[86:87]
	v_add_f64 v[48:49], v[48:49], -v[52:53]
	v_add_f64 v[52:53], v[34:35], -v[50:51]
	;; [unrolled: 1-line block ×3, first 2 shown]
	v_fmac_f64_e32 v[86:87], s[8:9], v[32:33]
	v_fmac_f64_e32 v[92:93], s[2:3], v[48:49]
	v_add_f64 v[52:53], v[52:53], v[96:97]
	v_fmac_f64_e32 v[86:87], s[10:11], v[48:49]
	v_fmac_f64_e32 v[92:93], s[12:13], v[52:53]
	v_fmac_f64_e32 v[86:87], s[12:13], v[52:53]
	v_add_f64 v[52:53], v[34:35], v[98:99]
	v_fmac_f64_e32 v[58:59], -0.5, v[52:53]
	v_fma_f64 v[96:97], s[8:9], v[48:49], v[58:59]
	v_fmac_f64_e32 v[58:59], s[6:7], v[48:49]
	v_fmac_f64_e32 v[96:97], s[2:3], v[32:33]
	;; [unrolled: 1-line block ×3, first 2 shown]
	v_add_f64 v[32:33], v[44:45], v[8:9]
	v_add_f64 v[32:33], v[32:33], v[12:13]
	;; [unrolled: 1-line block ×3, first 2 shown]
	v_add_f64 v[34:35], v[50:51], -v[34:35]
	v_add_f64 v[50:51], v[54:55], -v[98:99]
	s_waitcnt lgkmcnt(1)
	v_add_f64 v[48:49], v[32:33], v[28:29]
	v_add_f64 v[32:33], v[12:13], v[16:17]
	;; [unrolled: 1-line block ×3, first 2 shown]
	v_fma_f64 v[50:51], -0.5, v[32:33], v[44:45]
	v_add_f64 v[32:33], v[10:11], -v[30:31]
	v_fmac_f64_e32 v[96:97], s[12:13], v[34:35]
	v_fmac_f64_e32 v[58:59], s[12:13], v[34:35]
	v_fma_f64 v[34:35], s[8:9], v[32:33], v[50:51]
	v_add_f64 v[52:53], v[14:15], -v[18:19]
	v_add_f64 v[54:55], v[8:9], -v[12:13]
	;; [unrolled: 1-line block ×3, first 2 shown]
	v_fmac_f64_e32 v[50:51], s[6:7], v[32:33]
	v_fmac_f64_e32 v[34:35], s[10:11], v[52:53]
	v_add_f64 v[54:55], v[54:55], v[98:99]
	v_fmac_f64_e32 v[50:51], s[2:3], v[52:53]
	v_fmac_f64_e32 v[34:35], s[12:13], v[54:55]
	;; [unrolled: 1-line block ×3, first 2 shown]
	v_add_f64 v[54:55], v[8:9], v[28:29]
	v_fmac_f64_e32 v[44:45], -0.5, v[54:55]
	v_fma_f64 v[98:99], s[6:7], v[52:53], v[44:45]
	v_fmac_f64_e32 v[44:45], s[8:9], v[52:53]
	v_fmac_f64_e32 v[98:99], s[10:11], v[32:33]
	;; [unrolled: 1-line block ×3, first 2 shown]
	v_add_f64 v[32:33], v[46:47], v[10:11]
	v_add_f64 v[54:55], v[12:13], -v[8:9]
	v_add_f64 v[100:101], v[16:17], -v[28:29]
	v_add_f64 v[32:33], v[32:33], v[14:15]
	v_add_f64 v[54:55], v[54:55], v[100:101]
	;; [unrolled: 1-line block ×3, first 2 shown]
	v_fmac_f64_e32 v[98:99], s[12:13], v[54:55]
	v_fmac_f64_e32 v[44:45], s[12:13], v[54:55]
	v_add_f64 v[54:55], v[32:33], v[30:31]
	v_add_f64 v[32:33], v[14:15], v[18:19]
	v_fma_f64 v[52:53], -0.5, v[32:33], v[46:47]
	v_add_f64 v[8:9], v[8:9], -v[28:29]
	v_fma_f64 v[100:101], s[6:7], v[8:9], v[52:53]
	v_add_f64 v[12:13], v[12:13], -v[16:17]
	v_add_f64 v[16:17], v[10:11], -v[14:15]
	;; [unrolled: 1-line block ×3, first 2 shown]
	v_fmac_f64_e32 v[52:53], s[8:9], v[8:9]
	v_fmac_f64_e32 v[100:101], s[2:3], v[12:13]
	v_add_f64 v[16:17], v[16:17], v[28:29]
	v_fmac_f64_e32 v[52:53], s[10:11], v[12:13]
	v_fmac_f64_e32 v[100:101], s[12:13], v[16:17]
	v_fmac_f64_e32 v[52:53], s[12:13], v[16:17]
	v_add_f64 v[16:17], v[10:11], v[30:31]
	v_fmac_f64_e32 v[46:47], -0.5, v[16:17]
	v_fma_f64 v[102:103], s[8:9], v[12:13], v[46:47]
	v_add_f64 v[10:11], v[14:15], -v[10:11]
	v_add_f64 v[14:15], v[18:19], -v[30:31]
	v_fmac_f64_e32 v[102:103], s[2:3], v[8:9]
	v_add_f64 v[10:11], v[10:11], v[14:15]
	v_fmac_f64_e32 v[46:47], s[6:7], v[12:13]
	v_fmac_f64_e32 v[102:103], s[12:13], v[10:11]
	;; [unrolled: 1-line block ×3, first 2 shown]
	v_mul_f64 v[116:117], v[34:35], s[2:3]
	v_fmac_f64_e32 v[46:47], s[12:13], v[10:11]
	v_mul_f64 v[108:109], v[100:101], s[10:11]
	v_mul_f64 v[110:111], v[102:103], s[8:9]
	v_fmac_f64_e32 v[116:117], s[18:19], v[100:101]
	v_mul_f64 v[100:101], v[102:103], s[12:13]
	v_fmac_f64_e32 v[110:111], s[12:13], v[98:99]
	v_mul_f64 v[112:113], v[46:47], s[8:9]
	v_mul_f64 v[114:115], v[52:53], s[10:11]
	v_fmac_f64_e32 v[100:101], s[6:7], v[98:99]
	v_mul_f64 v[98:99], v[46:47], s[16:17]
	v_mul_f64 v[102:103], v[52:53], s[14:15]
	v_fmac_f64_e32 v[112:113], s[16:17], v[44:45]
	v_fmac_f64_e32 v[114:115], s[14:15], v[50:51]
	;; [unrolled: 1-line block ×4, first 2 shown]
	v_add_f64 v[16:17], v[60:61], v[48:49]
	v_fmac_f64_e32 v[108:109], s[18:19], v[34:35]
	v_add_f64 v[32:33], v[56:57], v[112:113]
	v_add_f64 v[28:29], v[62:63], v[114:115]
	;; [unrolled: 1-line block ×4, first 2 shown]
	v_add_f64 v[52:53], v[60:61], -v[48:49]
	v_add_f64 v[60:61], v[56:57], -v[112:113]
	;; [unrolled: 1-line block ×5, first 2 shown]
	v_add_f64 v[86:87], v[0:1], v[64:65]
	v_add_f64 v[86:87], v[86:87], v[68:69]
	;; [unrolled: 1-line block ×4, first 2 shown]
	v_add_f64 v[54:55], v[90:91], -v[54:55]
	v_add_f64 v[90:91], v[86:87], v[76:77]
	v_add_f64 v[86:87], v[68:69], v[72:73]
	;; [unrolled: 1-line block ×3, first 2 shown]
	v_add_f64 v[48:49], v[88:89], -v[108:109]
	v_fma_f64 v[88:89], -0.5, v[86:87], v[0:1]
	v_add_f64 v[86:87], v[66:67], -v[78:79]
	v_add_f64 v[8:9], v[94:95], v[110:111]
	v_add_f64 v[14:15], v[92:93], v[116:117]
	;; [unrolled: 1-line block ×3, first 2 shown]
	v_add_f64 v[44:45], v[94:95], -v[110:111]
	v_add_f64 v[50:51], v[92:93], -v[116:117]
	;; [unrolled: 1-line block ×3, first 2 shown]
	v_fma_f64 v[94:95], s[8:9], v[86:87], v[88:89]
	v_add_f64 v[92:93], v[70:71], -v[74:75]
	v_add_f64 v[96:97], v[64:65], -v[68:69]
	;; [unrolled: 1-line block ×3, first 2 shown]
	v_fmac_f64_e32 v[88:89], s[6:7], v[86:87]
	v_fmac_f64_e32 v[94:95], s[10:11], v[92:93]
	v_add_f64 v[96:97], v[96:97], v[98:99]
	v_fmac_f64_e32 v[88:89], s[2:3], v[92:93]
	v_fmac_f64_e32 v[94:95], s[12:13], v[96:97]
	v_fmac_f64_e32 v[88:89], s[12:13], v[96:97]
	v_add_f64 v[96:97], v[64:65], v[76:77]
	v_fmac_f64_e32 v[0:1], -0.5, v[96:97]
	v_fma_f64 v[98:99], s[6:7], v[92:93], v[0:1]
	v_fmac_f64_e32 v[0:1], s[8:9], v[92:93]
	v_fmac_f64_e32 v[98:99], s[10:11], v[86:87]
	;; [unrolled: 1-line block ×3, first 2 shown]
	v_add_f64 v[86:87], v[2:3], v[66:67]
	v_add_f64 v[86:87], v[86:87], v[70:71]
	;; [unrolled: 1-line block ×3, first 2 shown]
	v_add_f64 v[96:97], v[68:69], -v[64:65]
	v_add_f64 v[100:101], v[72:73], -v[76:77]
	v_add_f64 v[92:93], v[86:87], v[78:79]
	v_add_f64 v[86:87], v[70:71], v[74:75]
	;; [unrolled: 1-line block ×3, first 2 shown]
	v_fma_f64 v[86:87], -0.5, v[86:87], v[2:3]
	v_add_f64 v[64:65], v[64:65], -v[76:77]
	v_fmac_f64_e32 v[98:99], s[12:13], v[96:97]
	v_fmac_f64_e32 v[0:1], s[12:13], v[96:97]
	v_fma_f64 v[96:97], s[6:7], v[64:65], v[86:87]
	v_add_f64 v[68:69], v[68:69], -v[72:73]
	v_add_f64 v[72:73], v[66:67], -v[70:71]
	;; [unrolled: 1-line block ×3, first 2 shown]
	v_fmac_f64_e32 v[86:87], s[8:9], v[64:65]
	v_fmac_f64_e32 v[96:97], s[2:3], v[68:69]
	v_add_f64 v[72:73], v[72:73], v[76:77]
	v_fmac_f64_e32 v[86:87], s[10:11], v[68:69]
	v_fmac_f64_e32 v[96:97], s[12:13], v[72:73]
	;; [unrolled: 1-line block ×3, first 2 shown]
	v_add_f64 v[72:73], v[66:67], v[78:79]
	v_fmac_f64_e32 v[2:3], -0.5, v[72:73]
	v_fma_f64 v[100:101], s[8:9], v[68:69], v[2:3]
	v_fmac_f64_e32 v[2:3], s[6:7], v[68:69]
	v_fmac_f64_e32 v[100:101], s[2:3], v[64:65]
	;; [unrolled: 1-line block ×3, first 2 shown]
	v_add_f64 v[64:65], v[4:5], v[20:21]
	v_add_f64 v[64:65], v[64:65], v[24:25]
	v_add_f64 v[64:65], v[64:65], v[36:37]
	v_add_f64 v[66:67], v[70:71], -v[66:67]
	v_add_f64 v[70:71], v[74:75], -v[78:79]
	s_waitcnt lgkmcnt(0)
	v_add_f64 v[68:69], v[64:65], v[40:41]
	v_add_f64 v[64:65], v[24:25], v[36:37]
	;; [unrolled: 1-line block ×3, first 2 shown]
	v_fma_f64 v[70:71], -0.5, v[64:65], v[4:5]
	v_add_f64 v[64:65], v[22:23], -v[42:43]
	v_fmac_f64_e32 v[100:101], s[12:13], v[66:67]
	v_fmac_f64_e32 v[2:3], s[12:13], v[66:67]
	v_fma_f64 v[66:67], s[8:9], v[64:65], v[70:71]
	v_add_f64 v[72:73], v[26:27], -v[38:39]
	v_add_f64 v[74:75], v[20:21], -v[24:25]
	;; [unrolled: 1-line block ×3, first 2 shown]
	v_fmac_f64_e32 v[70:71], s[6:7], v[64:65]
	v_fmac_f64_e32 v[66:67], s[10:11], v[72:73]
	v_add_f64 v[74:75], v[74:75], v[76:77]
	v_fmac_f64_e32 v[70:71], s[2:3], v[72:73]
	v_fmac_f64_e32 v[66:67], s[12:13], v[74:75]
	;; [unrolled: 1-line block ×3, first 2 shown]
	v_add_f64 v[74:75], v[20:21], v[40:41]
	v_fmac_f64_e32 v[4:5], -0.5, v[74:75]
	v_fma_f64 v[76:77], s[6:7], v[72:73], v[4:5]
	v_fmac_f64_e32 v[4:5], s[8:9], v[72:73]
	v_fmac_f64_e32 v[76:77], s[10:11], v[64:65]
	;; [unrolled: 1-line block ×3, first 2 shown]
	v_add_f64 v[64:65], v[6:7], v[22:23]
	v_add_f64 v[74:75], v[24:25], -v[20:21]
	v_add_f64 v[78:79], v[36:37], -v[40:41]
	v_add_f64 v[64:65], v[64:65], v[26:27]
	v_add_f64 v[74:75], v[74:75], v[78:79]
	;; [unrolled: 1-line block ×3, first 2 shown]
	v_fmac_f64_e32 v[76:77], s[12:13], v[74:75]
	v_fmac_f64_e32 v[4:5], s[12:13], v[74:75]
	v_add_f64 v[74:75], v[64:65], v[42:43]
	v_add_f64 v[64:65], v[26:27], v[38:39]
	v_fma_f64 v[72:73], -0.5, v[64:65], v[6:7]
	v_add_f64 v[20:21], v[20:21], -v[40:41]
	v_fma_f64 v[78:79], s[6:7], v[20:21], v[72:73]
	v_add_f64 v[24:25], v[24:25], -v[36:37]
	v_add_f64 v[36:37], v[22:23], -v[26:27]
	v_add_f64 v[40:41], v[42:43], -v[38:39]
	v_fmac_f64_e32 v[72:73], s[8:9], v[20:21]
	v_fmac_f64_e32 v[78:79], s[2:3], v[24:25]
	v_add_f64 v[36:37], v[36:37], v[40:41]
	v_fmac_f64_e32 v[72:73], s[10:11], v[24:25]
	v_fmac_f64_e32 v[78:79], s[12:13], v[36:37]
	;; [unrolled: 1-line block ×3, first 2 shown]
	v_add_f64 v[36:37], v[22:23], v[42:43]
	v_fmac_f64_e32 v[6:7], -0.5, v[36:37]
	v_fma_f64 v[102:103], s[8:9], v[24:25], v[6:7]
	v_add_f64 v[22:23], v[26:27], -v[22:23]
	v_add_f64 v[26:27], v[38:39], -v[42:43]
	v_fmac_f64_e32 v[6:7], s[6:7], v[24:25]
	v_fmac_f64_e32 v[102:103], s[2:3], v[20:21]
	v_add_f64 v[22:23], v[22:23], v[26:27]
	v_fmac_f64_e32 v[6:7], s[10:11], v[20:21]
	v_fmac_f64_e32 v[102:103], s[12:13], v[22:23]
	;; [unrolled: 1-line block ×3, first 2 shown]
	v_mul_f64 v[116:117], v[66:67], s[2:3]
	v_mul_f64 v[108:109], v[78:79], s[10:11]
	;; [unrolled: 1-line block ×3, first 2 shown]
	v_fmac_f64_e32 v[116:117], s[18:19], v[78:79]
	v_mul_f64 v[78:79], v[102:103], s[12:13]
	v_mul_f64 v[118:119], v[6:7], s[16:17]
	;; [unrolled: 1-line block ×3, first 2 shown]
	v_fmac_f64_e32 v[78:79], s[6:7], v[76:77]
	v_fmac_f64_e32 v[118:119], s[6:7], v[4:5]
	;; [unrolled: 1-line block ×4, first 2 shown]
	v_mul_f64 v[112:113], v[6:7], s[8:9]
	v_mul_f64 v[114:115], v[72:73], s[10:11]
	v_add_f64 v[22:23], v[100:101], v[78:79]
	v_add_f64 v[66:67], v[2:3], v[118:119]
	;; [unrolled: 1-line block ×3, first 2 shown]
	v_add_f64 v[6:7], v[100:101], -v[78:79]
	v_add_f64 v[78:79], v[2:3], -v[118:119]
	;; [unrolled: 1-line block ×3, first 2 shown]
	v_mul_u32_u24_e32 v86, 10, v82
	v_fmac_f64_e32 v[112:113], s[16:17], v[4:5]
	v_fmac_f64_e32 v[114:115], s[14:15], v[70:71]
	v_lshlrev_b32_e32 v86, 4, v86
	v_fmac_f64_e32 v[110:111], s[12:13], v[76:77]
	v_add_f64 v[64:65], v[0:1], v[112:113]
	v_add_f64 v[76:77], v[0:1], -v[112:113]
	v_add_f64 v[0:1], v[88:89], -v[114:115]
	v_add3_u32 v86, 0, v86, v106
	v_add_f64 v[36:37], v[90:91], v[68:69]
	v_add_f64 v[24:25], v[94:95], v[108:109]
	;; [unrolled: 1-line block ×6, first 2 shown]
	v_add_f64 v[72:73], v[90:91], -v[68:69]
	v_add_f64 v[68:69], v[94:95], -v[108:109]
	;; [unrolled: 1-line block ×5, first 2 shown]
	s_waitcnt lgkmcnt(0)
	; wave barrier
	ds_write_b128 v86, v[16:19]
	ds_write_b128 v86, v[12:15] offset:16
	ds_write_b128 v86, v[8:11] offset:32
	;; [unrolled: 1-line block ×19, first 2 shown]
	v_add_u32_e32 v0, -10, v82
	v_cndmask_b32_e32 v89, v0, v82, vcc
	v_mul_i32_i24_e32 v0, 3, v89
	v_mov_b32_e32 v1, v85
	v_lshl_add_u64 v[8:9], v[0:1], 4, s[4:5]
	v_or_b32_e32 v10, 16, v82
	s_waitcnt lgkmcnt(0)
	; wave barrier
	s_waitcnt lgkmcnt(0)
	global_load_dwordx4 v[4:7], v[8:9], off
	global_load_dwordx4 v[0:3], v[8:9], off offset:16
	v_mul_lo_u16_e32 v11, 26, v10
	v_lshrrev_b16_e32 v87, 8, v11
	v_mul_lo_u16_e32 v11, 10, v87
	v_sub_u16_e32 v88, v10, v11
	v_mov_b32_e32 v48, 3
	v_mul_u32_u24_sdwa v12, v88, v48 dst_sel:DWORD dst_unused:UNUSED_PAD src0_sel:BYTE_0 src1_sel:DWORD
	global_load_dwordx4 v[8:11], v[8:9], off offset:32
	v_lshlrev_b32_e32 v24, 4, v12
	v_or_b32_e32 v86, 32, v82
	global_load_dwordx4 v[20:23], v24, s[4:5]
	global_load_dwordx4 v[16:19], v24, s[4:5] offset:16
	global_load_dwordx4 v[12:15], v24, s[4:5] offset:32
	v_mul_lo_u16_e32 v24, 26, v86
	v_lshrrev_b16_e32 v90, 8, v24
	v_mul_lo_u16_e32 v24, 10, v90
	v_sub_u16_e32 v91, v86, v24
	v_mul_u32_u24_sdwa v24, v91, v48 dst_sel:DWORD dst_unused:UNUSED_PAD src0_sel:BYTE_0 src1_sel:DWORD
	v_lshlrev_b32_e32 v32, 4, v24
	global_load_dwordx4 v[24:27], v32, s[4:5]
	global_load_dwordx4 v[28:31], v32, s[4:5] offset:16
	v_or_b32_e32 v36, 48, v82
	v_mul_lo_u16_e32 v33, 26, v36
	v_lshrrev_b16_e32 v92, 8, v33
	v_mul_lo_u16_e32 v37, 10, v92
	v_sub_u16_e32 v93, v36, v37
	global_load_dwordx4 v[32:35], v32, s[4:5] offset:32
	v_mul_u32_u24_sdwa v36, v93, v48 dst_sel:DWORD dst_unused:UNUSED_PAD src0_sel:BYTE_0 src1_sel:DWORD
	v_lshlrev_b32_e32 v49, 4, v36
	global_load_dwordx4 v[36:39], v49, s[4:5]
	global_load_dwordx4 v[40:43], v49, s[4:5] offset:32
	global_load_dwordx4 v[44:47], v49, s[4:5] offset:16
	v_or_b32_e32 v49, 64, v82
	v_mul_lo_u16_e32 v50, 0x67, v49
	v_lshrrev_b16_e32 v94, 10, v50
	v_mul_lo_u16_e32 v50, 10, v94
	v_sub_u16_e32 v95, v49, v50
	v_mul_u32_u24_sdwa v48, v95, v48 dst_sel:DWORD dst_unused:UNUSED_PAD src0_sel:BYTE_0 src1_sel:DWORD
	v_lshlrev_b32_e32 v60, 4, v48
	global_load_dwordx4 v[48:51], v60, s[4:5]
	global_load_dwordx4 v[52:55], v60, s[4:5] offset:16
	global_load_dwordx4 v[56:59], v60, s[4:5] offset:32
	ds_read_b128 v[60:63], v107 offset:1280
	ds_read_b128 v[64:67], v104
	ds_read_b128 v[96:99], v107 offset:256
	ds_read_b128 v[68:71], v107 offset:2560
	;; [unrolled: 1-line block ×8, first 2 shown]
	v_cmp_lt_u32_e32 vcc, 9, v82
	v_lshlrev_b32_e32 v89, 4, v89
	s_movk_i32 s2, 0x280
	s_waitcnt vmcnt(14) lgkmcnt(9)
	v_mul_f64 v[120:121], v[62:63], v[6:7]
	v_mul_f64 v[6:7], v[60:61], v[6:7]
	v_fmac_f64_e32 v[120:121], v[60:61], v[4:5]
	v_fma_f64 v[60:61], v[62:63], v[4:5], -v[6:7]
	ds_read_b128 v[4:7], v107 offset:3840
	s_waitcnt vmcnt(13) lgkmcnt(7)
	v_mul_f64 v[62:63], v[70:71], v[2:3]
	v_mul_f64 v[2:3], v[68:69], v[2:3]
	v_fmac_f64_e32 v[62:63], v[68:69], v[0:1]
	v_fma_f64 v[68:69], v[70:71], v[0:1], -v[2:3]
	ds_read_b128 v[0:3], v107 offset:3584
	s_waitcnt vmcnt(12) lgkmcnt(1)
	v_mul_f64 v[70:71], v[6:7], v[10:11]
	v_fmac_f64_e32 v[70:71], v[4:5], v[8:9]
	v_mul_f64 v[4:5], v[4:5], v[10:11]
	v_fma_f64 v[122:123], v[6:7], v[8:9], -v[4:5]
	s_waitcnt vmcnt(11)
	v_mul_f64 v[4:5], v[76:77], v[22:23]
	s_waitcnt vmcnt(10)
	v_mul_f64 v[128:129], v[74:75], v[18:19]
	v_mul_f64 v[18:19], v[72:73], v[18:19]
	s_waitcnt vmcnt(9)
	v_mul_f64 v[132:133], v[110:111], v[14:15]
	v_mul_f64 v[14:15], v[108:109], v[14:15]
	v_fma_f64 v[126:127], v[78:79], v[20:21], -v[4:5]
	ds_read_b128 v[4:7], v107 offset:512
	ds_read_b128 v[8:11], v107 offset:768
	v_fmac_f64_e32 v[128:129], v[72:73], v[16:17]
	v_fma_f64 v[130:131], v[74:75], v[16:17], -v[18:19]
	v_fmac_f64_e32 v[132:133], v[108:109], v[12:13]
	v_fma_f64 v[108:109], v[110:111], v[12:13], -v[14:15]
	ds_read_b128 v[12:15], v107 offset:3072
	ds_read_b128 v[16:19], v107 offset:3328
	v_mul_f64 v[124:125], v[78:79], v[22:23]
	v_fmac_f64_e32 v[124:125], v[76:77], v[20:21]
	s_waitcnt vmcnt(8)
	v_mul_f64 v[110:111], v[102:103], v[26:27]
	v_mul_f64 v[20:21], v[100:101], v[26:27]
	v_fmac_f64_e32 v[110:111], v[100:101], v[24:25]
	v_fma_f64 v[100:101], v[102:103], v[24:25], -v[20:21]
	s_waitcnt vmcnt(7) lgkmcnt(1)
	v_mul_f64 v[102:103], v[14:15], v[30:31]
	v_fmac_f64_e32 v[102:103], v[12:13], v[28:29]
	v_mul_f64 v[12:13], v[12:13], v[30:31]
	v_fma_f64 v[28:29], v[14:15], v[28:29], -v[12:13]
	ds_read_b128 v[12:15], v107 offset:2048
	ds_read_b128 v[20:23], v107 offset:2304
	s_waitcnt vmcnt(6)
	v_mul_f64 v[30:31], v[114:115], v[34:35]
	v_mul_f64 v[24:25], v[112:113], v[34:35]
	v_fmac_f64_e32 v[30:31], v[112:113], v[32:33]
	s_waitcnt vmcnt(5) lgkmcnt(1)
	v_mul_f64 v[34:35], v[14:15], v[38:39]
	v_fmac_f64_e32 v[34:35], v[12:13], v[36:37]
	v_mul_f64 v[12:13], v[12:13], v[38:39]
	v_fma_f64 v[32:33], v[114:115], v[32:33], -v[24:25]
	v_fma_f64 v[36:37], v[14:15], v[36:37], -v[12:13]
	ds_read_b128 v[12:15], v107 offset:4608
	ds_read_b128 v[24:27], v107 offset:4864
	s_waitcnt vmcnt(3)
	v_mul_f64 v[38:39], v[18:19], v[46:47]
	v_fmac_f64_e32 v[38:39], v[16:17], v[44:45]
	v_mul_f64 v[16:17], v[16:17], v[46:47]
	v_fma_f64 v[16:17], v[18:19], v[44:45], -v[16:17]
	s_waitcnt lgkmcnt(1)
	v_mul_f64 v[18:19], v[14:15], v[42:43]
	v_fmac_f64_e32 v[18:19], v[12:13], v[40:41]
	v_mul_f64 v[12:13], v[12:13], v[42:43]
	v_fma_f64 v[12:13], v[14:15], v[40:41], -v[12:13]
	s_waitcnt vmcnt(2)
	v_mul_f64 v[112:113], v[22:23], v[50:51]
	v_mul_f64 v[14:15], v[20:21], v[50:51]
	v_fmac_f64_e32 v[112:113], v[20:21], v[48:49]
	v_fma_f64 v[20:21], v[22:23], v[48:49], -v[14:15]
	s_waitcnt vmcnt(1)
	v_mul_f64 v[22:23], v[2:3], v[54:55]
	v_fmac_f64_e32 v[22:23], v[0:1], v[52:53]
	v_mul_f64 v[0:1], v[0:1], v[54:55]
	v_fma_f64 v[0:1], v[2:3], v[52:53], -v[0:1]
	s_waitcnt vmcnt(0) lgkmcnt(0)
	v_mul_f64 v[2:3], v[26:27], v[58:59]
	v_mul_f64 v[14:15], v[24:25], v[58:59]
	v_fmac_f64_e32 v[2:3], v[24:25], v[56:57]
	v_fma_f64 v[114:115], v[26:27], v[56:57], -v[14:15]
	v_add_f64 v[14:15], v[64:65], -v[62:63]
	v_add_f64 v[24:25], v[66:67], -v[68:69]
	;; [unrolled: 1-line block ×4, first 2 shown]
	v_fma_f64 v[26:27], v[64:65], 2.0, -v[14:15]
	v_fma_f64 v[40:41], v[66:67], 2.0, -v[24:25]
	;; [unrolled: 1-line block ×4, first 2 shown]
	v_add_f64 v[68:69], v[14:15], v[44:45]
	v_add_f64 v[70:71], v[24:25], -v[42:43]
	v_add_f64 v[64:65], v[26:27], -v[46:47]
	;; [unrolled: 1-line block ×3, first 2 shown]
	v_fma_f64 v[72:73], v[14:15], 2.0, -v[68:69]
	v_fma_f64 v[74:75], v[24:25], 2.0, -v[70:71]
	v_add_f64 v[14:15], v[96:97], -v[128:129]
	v_add_f64 v[24:25], v[98:99], -v[130:131]
	;; [unrolled: 1-line block ×4, first 2 shown]
	v_fma_f64 v[76:77], v[26:27], 2.0, -v[64:65]
	v_fma_f64 v[78:79], v[40:41], 2.0, -v[66:67]
	;; [unrolled: 1-line block ×6, first 2 shown]
	v_add_f64 v[52:53], v[26:27], -v[46:47]
	v_add_f64 v[54:55], v[40:41], -v[48:49]
	v_add_f64 v[48:49], v[14:15], v[44:45]
	v_add_f64 v[50:51], v[24:25], -v[42:43]
	v_fma_f64 v[60:61], v[26:27], 2.0, -v[52:53]
	v_fma_f64 v[56:57], v[14:15], 2.0, -v[48:49]
	;; [unrolled: 1-line block ×3, first 2 shown]
	v_add_f64 v[14:15], v[4:5], -v[102:103]
	v_add_f64 v[42:43], v[6:7], -v[28:29]
	;; [unrolled: 1-line block ×4, first 2 shown]
	v_fma_f64 v[4:5], v[4:5], 2.0, -v[14:15]
	v_fma_f64 v[6:7], v[6:7], 2.0, -v[42:43]
	;; [unrolled: 1-line block ×4, first 2 shown]
	v_add_f64 v[28:29], v[4:5], -v[28:29]
	v_add_f64 v[30:31], v[6:7], -v[30:31]
	v_fma_f64 v[44:45], v[4:5], 2.0, -v[28:29]
	v_fma_f64 v[46:47], v[6:7], 2.0, -v[30:31]
	v_add_f64 v[24:25], v[14:15], v[24:25]
	v_add_f64 v[4:5], v[8:9], -v[38:39]
	v_add_f64 v[6:7], v[10:11], -v[16:17]
	;; [unrolled: 1-line block ×4, first 2 shown]
	v_fma_f64 v[62:63], v[40:41], 2.0, -v[54:55]
	v_fma_f64 v[40:41], v[14:15], 2.0, -v[24:25]
	;; [unrolled: 1-line block ×6, first 2 shown]
	v_add_f64 v[12:13], v[8:9], -v[12:13]
	v_add_f64 v[14:15], v[10:11], -v[14:15]
	v_fma_f64 v[36:37], v[8:9], 2.0, -v[12:13]
	v_fma_f64 v[38:39], v[10:11], 2.0, -v[14:15]
	v_add_f64 v[8:9], v[4:5], v[18:19]
	v_add_f64 v[10:11], v[6:7], -v[16:17]
	v_add_f64 v[16:17], v[116:117], -v[22:23]
	;; [unrolled: 1-line block ×3, first 2 shown]
	v_fma_f64 v[32:33], v[4:5], 2.0, -v[8:9]
	v_add_f64 v[18:19], v[118:119], -v[0:1]
	v_fma_f64 v[0:1], v[116:117], 2.0, -v[16:17]
	v_fma_f64 v[4:5], v[112:113], 2.0, -v[2:3]
	v_add_f64 v[96:97], v[20:21], -v[114:115]
	v_add_f64 v[4:5], v[0:1], -v[4:5]
	v_fma_f64 v[34:35], v[6:7], 2.0, -v[10:11]
	v_fma_f64 v[6:7], v[20:21], 2.0, -v[96:97]
	;; [unrolled: 1-line block ×3, first 2 shown]
	v_add_f64 v[0:1], v[16:17], v[96:97]
	v_mov_b32_e32 v96, 0x280
	v_cndmask_b32_e32 v96, 0, v96, vcc
	v_add_u32_e32 v96, 0, v96
	v_add3_u32 v89, v96, v89, v106
	s_waitcnt lgkmcnt(0)
	; wave barrier
	ds_write_b128 v89, v[76:79]
	ds_write_b128 v89, v[72:75] offset:160
	ds_write_b128 v89, v[64:67] offset:320
	;; [unrolled: 1-line block ×3, first 2 shown]
	v_mov_b32_e32 v65, 4
	v_mad_u32_u24 v64, v87, s2, 0
	v_lshlrev_b32_sdwa v66, v65, v88 dst_sel:DWORD dst_unused:UNUSED_PAD src0_sel:DWORD src1_sel:BYTE_0
	v_add3_u32 v64, v64, v66, v106
	ds_write_b128 v64, v[60:63]
	ds_write_b128 v64, v[56:59] offset:160
	ds_write_b128 v64, v[52:55] offset:320
	;; [unrolled: 1-line block ×3, first 2 shown]
	v_mad_u32_u24 v48, v90, s2, 0
	v_lshlrev_b32_sdwa v49, v65, v91 dst_sel:DWORD dst_unused:UNUSED_PAD src0_sel:DWORD src1_sel:BYTE_0
	v_add_f64 v[26:27], v[42:43], -v[26:27]
	v_add3_u32 v48, v48, v49, v106
	v_fma_f64 v[42:43], v[42:43], 2.0, -v[26:27]
	ds_write_b128 v48, v[44:47]
	ds_write_b128 v48, v[40:43] offset:160
	ds_write_b128 v48, v[28:31] offset:320
	;; [unrolled: 1-line block ×3, first 2 shown]
	v_mad_u32_u24 v24, v92, s2, 0
	v_lshlrev_b32_sdwa v25, v65, v93 dst_sel:DWORD dst_unused:UNUSED_PAD src0_sel:DWORD src1_sel:BYTE_0
	v_fma_f64 v[22:23], v[118:119], 2.0, -v[18:19]
	v_add3_u32 v24, v24, v25, v106
	v_add_f64 v[6:7], v[22:23], -v[6:7]
	ds_write_b128 v24, v[36:39]
	ds_write_b128 v24, v[32:35] offset:160
	ds_write_b128 v24, v[12:15] offset:320
	;; [unrolled: 1-line block ×3, first 2 shown]
	v_mad_u32_u24 v8, v94, s2, 0
	v_lshlrev_b32_sdwa v9, v65, v95 dst_sel:DWORD dst_unused:UNUSED_PAD src0_sel:DWORD src1_sel:BYTE_0
	v_fma_f64 v[22:23], v[22:23], 2.0, -v[6:7]
	v_add_f64 v[2:3], v[18:19], -v[2:3]
	v_add3_u32 v8, v8, v9, v106
	v_fma_f64 v[16:17], v[16:17], 2.0, -v[0:1]
	v_fma_f64 v[18:19], v[18:19], 2.0, -v[2:3]
	ds_write_b128 v8, v[20:23]
	ds_write_b128 v8, v[16:19] offset:160
	ds_write_b128 v8, v[4:7] offset:320
	;; [unrolled: 1-line block ×3, first 2 shown]
	v_mul_u32_u24_e32 v0, 3, v82
	v_lshlrev_b32_e32 v48, 4, v0
	s_waitcnt lgkmcnt(0)
	; wave barrier
	s_waitcnt lgkmcnt(0)
	global_load_dwordx4 v[8:11], v48, s[4:5] offset:480
	global_load_dwordx4 v[4:7], v48, s[4:5] offset:496
	;; [unrolled: 1-line block ×6, first 2 shown]
	v_add_u32_e32 v24, -8, v82
	v_cmp_gt_u32_e32 vcc, 40, v86
	v_mov_b32_e32 v25, v85
	v_add_u32_e32 v49, 0x180, v48
	v_cndmask_b32_e32 v87, v24, v86, vcc
	v_mul_i32_i24_e32 v24, 3, v87
	v_lshl_add_u64 v[36:37], v[24:25], 4, s[4:5]
	global_load_dwordx4 v[24:27], v[36:37], off offset:480
	global_load_dwordx4 v[28:31], v[36:37], off offset:496
	;; [unrolled: 1-line block ×3, first 2 shown]
	s_nop 0
	global_load_dwordx4 v[36:39], v49, s[4:5] offset:480
	global_load_dwordx4 v[40:43], v49, s[4:5] offset:496
	;; [unrolled: 1-line block ×3, first 2 shown]
	v_add_u32_e32 v60, 0x480, v48
	global_load_dwordx4 v[48:51], v60, s[4:5] offset:480
	global_load_dwordx4 v[52:55], v60, s[4:5] offset:496
	;; [unrolled: 1-line block ×3, first 2 shown]
	ds_read_b128 v[60:63], v107 offset:1280
	ds_read_b128 v[64:67], v104
	ds_read_b128 v[88:91], v107 offset:256
	ds_read_b128 v[68:71], v107 offset:2560
	;; [unrolled: 1-line block ×10, first 2 shown]
	v_cmp_lt_u32_e32 vcc, 39, v86
	s_movk_i32 s2, 0x1000
	s_waitcnt vmcnt(14) lgkmcnt(11)
	v_mul_f64 v[120:121], v[62:63], v[10:11]
	v_mul_f64 v[10:11], v[60:61], v[10:11]
	v_fmac_f64_e32 v[120:121], v[60:61], v[8:9]
	v_fma_f64 v[60:61], v[62:63], v[8:9], -v[10:11]
	ds_read_b128 v[8:11], v107 offset:3840
	s_waitcnt vmcnt(13) lgkmcnt(9)
	v_mul_f64 v[62:63], v[70:71], v[6:7]
	v_mul_f64 v[6:7], v[68:69], v[6:7]
	v_fmac_f64_e32 v[62:63], v[68:69], v[4:5]
	v_fma_f64 v[68:69], v[70:71], v[4:5], -v[6:7]
	ds_read_b128 v[4:7], v107 offset:3584
	s_waitcnt vmcnt(12) lgkmcnt(1)
	v_mul_f64 v[70:71], v[10:11], v[2:3]
	v_mul_f64 v[2:3], v[8:9], v[2:3]
	v_fmac_f64_e32 v[70:71], v[8:9], v[0:1]
	v_fma_f64 v[122:123], v[10:11], v[0:1], -v[2:3]
	s_waitcnt vmcnt(11)
	v_mul_f64 v[0:1], v[76:77], v[22:23]
	v_fma_f64 v[126:127], v[78:79], v[20:21], -v[0:1]
	ds_read_b128 v[0:3], v107 offset:3072
	ds_read_b128 v[8:11], v107 offset:3328
	s_waitcnt vmcnt(10)
	v_mul_f64 v[128:129], v[74:75], v[18:19]
	v_mul_f64 v[18:19], v[72:73], v[18:19]
	s_waitcnt vmcnt(9)
	v_mul_f64 v[132:133], v[98:99], v[14:15]
	v_mul_f64 v[14:15], v[96:97], v[14:15]
	v_fmac_f64_e32 v[128:129], v[72:73], v[16:17]
	v_fma_f64 v[130:131], v[74:75], v[16:17], -v[18:19]
	v_fmac_f64_e32 v[132:133], v[96:97], v[12:13]
	v_fma_f64 v[96:97], v[98:99], v[12:13], -v[14:15]
	ds_read_b128 v[12:15], v107 offset:2048
	ds_read_b128 v[16:19], v107 offset:2304
	v_mul_f64 v[124:125], v[78:79], v[22:23]
	v_fmac_f64_e32 v[124:125], v[76:77], v[20:21]
	s_waitcnt vmcnt(8)
	v_mul_f64 v[98:99], v[94:95], v[26:27]
	v_mul_f64 v[20:21], v[92:93], v[26:27]
	s_waitcnt vmcnt(7) lgkmcnt(3)
	v_mul_f64 v[26:27], v[2:3], v[30:31]
	v_fmac_f64_e32 v[26:27], v[0:1], v[28:29]
	v_mul_f64 v[0:1], v[0:1], v[30:31]
	s_waitcnt vmcnt(6)
	v_mul_f64 v[30:31], v[102:103], v[34:35]
	v_mul_f64 v[34:35], v[100:101], v[34:35]
	v_fmac_f64_e32 v[98:99], v[92:93], v[24:25]
	v_fma_f64 v[24:25], v[94:95], v[24:25], -v[20:21]
	v_fma_f64 v[28:29], v[2:3], v[28:29], -v[0:1]
	ds_read_b128 v[0:3], v107 offset:4608
	ds_read_b128 v[20:23], v107 offset:4864
	v_fmac_f64_e32 v[30:31], v[100:101], v[32:33]
	v_fma_f64 v[32:33], v[102:103], v[32:33], -v[34:35]
	s_waitcnt vmcnt(5) lgkmcnt(3)
	v_mul_f64 v[34:35], v[14:15], v[38:39]
	v_fmac_f64_e32 v[34:35], v[12:13], v[36:37]
	v_mul_f64 v[12:13], v[12:13], v[38:39]
	v_fma_f64 v[12:13], v[14:15], v[36:37], -v[12:13]
	s_waitcnt vmcnt(4)
	v_mul_f64 v[14:15], v[10:11], v[42:43]
	v_fmac_f64_e32 v[14:15], v[8:9], v[40:41]
	v_mul_f64 v[8:9], v[8:9], v[42:43]
	v_fma_f64 v[8:9], v[10:11], v[40:41], -v[8:9]
	s_waitcnt vmcnt(3) lgkmcnt(1)
	v_mul_f64 v[10:11], v[2:3], v[46:47]
	v_fmac_f64_e32 v[10:11], v[0:1], v[44:45]
	v_mul_f64 v[0:1], v[0:1], v[46:47]
	v_fma_f64 v[0:1], v[2:3], v[44:45], -v[0:1]
	s_waitcnt vmcnt(2)
	v_mul_f64 v[2:3], v[18:19], v[50:51]
	v_fmac_f64_e32 v[2:3], v[16:17], v[48:49]
	v_mul_f64 v[16:17], v[16:17], v[50:51]
	s_waitcnt vmcnt(1)
	v_mul_f64 v[94:95], v[6:7], v[54:55]
	v_fma_f64 v[92:93], v[18:19], v[48:49], -v[16:17]
	v_fmac_f64_e32 v[94:95], v[4:5], v[52:53]
	v_mul_f64 v[4:5], v[4:5], v[54:55]
	s_waitcnt vmcnt(0) lgkmcnt(0)
	v_mul_f64 v[16:17], v[20:21], v[58:59]
	v_fma_f64 v[4:5], v[6:7], v[52:53], -v[4:5]
	v_mul_f64 v[6:7], v[22:23], v[58:59]
	v_fma_f64 v[100:101], v[22:23], v[56:57], -v[16:17]
	v_add_f64 v[16:17], v[64:65], -v[62:63]
	v_add_f64 v[36:37], v[120:121], -v[70:71]
	;; [unrolled: 1-line block ×3, first 2 shown]
	v_fmac_f64_e32 v[6:7], v[20:21], v[56:57]
	v_add_f64 v[18:19], v[66:67], -v[68:69]
	v_fma_f64 v[20:21], v[64:65], 2.0, -v[16:17]
	v_fma_f64 v[40:41], v[120:121], 2.0, -v[36:37]
	v_add_f64 v[68:69], v[16:17], v[38:39]
	v_fma_f64 v[42:43], v[60:61], 2.0, -v[38:39]
	v_add_f64 v[60:61], v[20:21], -v[40:41]
	v_add_f64 v[70:71], v[18:19], -v[36:37]
	v_fma_f64 v[72:73], v[16:17], 2.0, -v[68:69]
	v_add_f64 v[16:17], v[88:89], -v[128:129]
	v_add_f64 v[36:37], v[124:125], -v[132:133]
	v_fma_f64 v[22:23], v[66:67], 2.0, -v[18:19]
	v_fma_f64 v[76:77], v[20:21], 2.0, -v[60:61]
	;; [unrolled: 1-line block ×3, first 2 shown]
	v_add_f64 v[38:39], v[126:127], -v[96:97]
	v_fma_f64 v[40:41], v[124:125], 2.0, -v[36:37]
	v_add_f64 v[62:63], v[22:23], -v[42:43]
	v_fma_f64 v[74:75], v[18:19], 2.0, -v[70:71]
	v_add_f64 v[18:19], v[90:91], -v[130:131]
	v_add_f64 v[52:53], v[20:21], -v[40:41]
	v_add_f64 v[48:49], v[16:17], v[38:39]
	v_add_f64 v[26:27], v[108:109], -v[26:27]
	v_add_f64 v[30:31], v[98:99], -v[30:31]
	v_fma_f64 v[78:79], v[22:23], 2.0, -v[62:63]
	v_fma_f64 v[22:23], v[90:91], 2.0, -v[18:19]
	;; [unrolled: 1-line block ×7, first 2 shown]
	v_add_f64 v[54:55], v[22:23], -v[42:43]
	v_add_f64 v[50:51], v[18:19], -v[36:37]
	;; [unrolled: 1-line block ×5, first 2 shown]
	v_fma_f64 v[66:67], v[22:23], 2.0, -v[54:55]
	v_fma_f64 v[58:59], v[18:19], 2.0, -v[50:51]
	;; [unrolled: 1-line block ×5, first 2 shown]
	v_add_f64 v[16:17], v[26:27], v[32:33]
	v_add_f64 v[24:25], v[112:113], -v[14:15]
	v_add_f64 v[10:11], v[34:35], -v[10:11]
	v_add_f64 v[22:23], v[18:19], -v[22:23]
	v_fma_f64 v[40:41], v[26:27], 2.0, -v[16:17]
	v_add_f64 v[26:27], v[114:115], -v[8:9]
	v_fma_f64 v[8:9], v[112:113], 2.0, -v[24:25]
	v_add_f64 v[0:1], v[12:13], -v[0:1]
	v_fma_f64 v[14:15], v[34:35], 2.0, -v[10:11]
	v_fma_f64 v[46:47], v[18:19], 2.0, -v[22:23]
	v_add_f64 v[18:19], v[28:29], -v[30:31]
	v_fma_f64 v[30:31], v[12:13], 2.0, -v[0:1]
	v_add_f64 v[12:13], v[8:9], -v[14:15]
	v_fma_f64 v[36:37], v[8:9], 2.0, -v[12:13]
	v_add_f64 v[8:9], v[24:25], v[0:1]
	v_add_f64 v[10:11], v[26:27], -v[10:11]
	v_fma_f64 v[32:33], v[24:25], 2.0, -v[8:9]
	v_add_f64 v[24:25], v[116:117], -v[94:95]
	v_add_f64 v[88:89], v[2:3], -v[6:7]
	v_fma_f64 v[42:43], v[28:29], 2.0, -v[18:19]
	v_fma_f64 v[28:29], v[114:115], 2.0, -v[26:27]
	v_fma_f64 v[34:35], v[26:27], 2.0, -v[10:11]
	v_add_f64 v[26:27], v[118:119], -v[4:5]
	v_fma_f64 v[0:1], v[116:117], 2.0, -v[24:25]
	v_add_f64 v[90:91], v[92:93], -v[100:101]
	v_fma_f64 v[2:3], v[2:3], 2.0, -v[88:89]
	s_waitcnt lgkmcnt(0)
	; wave barrier
	ds_write_b128 v107, v[76:79]
	ds_write_b128 v107, v[72:75] offset:640
	ds_write_b128 v107, v[60:63] offset:1280
	;; [unrolled: 1-line block ×7, first 2 shown]
	v_mov_b32_e32 v48, 0xa00
	v_add_f64 v[14:15], v[28:29], -v[30:31]
	v_fma_f64 v[30:31], v[118:119], 2.0, -v[26:27]
	v_fma_f64 v[6:7], v[92:93], 2.0, -v[90:91]
	v_add_f64 v[4:5], v[0:1], -v[2:3]
	v_cndmask_b32_e32 v48, 0, v48, vcc
	v_fma_f64 v[38:39], v[28:29], 2.0, -v[14:15]
	v_add_f64 v[6:7], v[30:31], -v[6:7]
	v_fma_f64 v[28:29], v[0:1], 2.0, -v[4:5]
	v_add_f64 v[0:1], v[24:25], v[90:91]
	v_add_f64 v[2:3], v[26:27], -v[88:89]
	v_add_u32_e32 v48, 0, v48
	v_lshlrev_b32_e32 v49, 4, v87
	v_fma_f64 v[30:31], v[30:31], 2.0, -v[6:7]
	v_fma_f64 v[24:25], v[24:25], 2.0, -v[0:1]
	;; [unrolled: 1-line block ×3, first 2 shown]
	v_add3_u32 v48, v48, v49, v106
	ds_write_b128 v48, v[44:47]
	ds_write_b128 v48, v[40:43] offset:640
	ds_write_b128 v48, v[20:23] offset:1280
	;; [unrolled: 1-line block ×11, first 2 shown]
	s_waitcnt lgkmcnt(0)
	; wave barrier
	s_waitcnt lgkmcnt(0)
	global_load_dwordx4 v[12:15], v105, s[4:5] offset:2400
	global_load_dwordx4 v[16:19], v84, s[4:5] offset:2656
	;; [unrolled: 1-line block ×6, first 2 shown]
	v_lshl_add_u64 v[0:1], s[4:5], 0, v[84:85]
	global_load_dwordx4 v[36:39], v84, s[4:5] offset:3936
	v_add_co_u32_e32 v0, vcc, s2, v0
	s_nop 1
	v_addc_co_u32_e32 v1, vcc, 0, v1, vcc
	global_load_dwordx4 v[40:43], v[0:1], off offset:96
	global_load_dwordx4 v[44:47], v[0:1], off offset:352
	;; [unrolled: 1-line block ×3, first 2 shown]
	ds_read_b128 v[52:55], v104
	ds_read_b128 v[56:59], v107 offset:256
	ds_read_b128 v[60:63], v107 offset:2560
	;; [unrolled: 1-line block ×17, first 2 shown]
	s_waitcnt vmcnt(9) lgkmcnt(14)
	v_mul_f64 v[120:121], v[62:63], v[14:15]
	v_mul_f64 v[14:15], v[60:61], v[14:15]
	v_fmac_f64_e32 v[120:121], v[60:61], v[12:13]
	v_fma_f64 v[60:61], v[62:63], v[12:13], -v[14:15]
	s_waitcnt vmcnt(8)
	v_mul_f64 v[62:63], v[66:67], v[18:19]
	v_mul_f64 v[12:13], v[64:65], v[18:19]
	v_fmac_f64_e32 v[62:63], v[64:65], v[16:17]
	v_fma_f64 v[64:65], v[66:67], v[16:17], -v[12:13]
	s_waitcnt vmcnt(7) lgkmcnt(11)
	v_mul_f64 v[66:67], v[78:79], v[22:23]
	v_mul_f64 v[22:23], v[76:77], v[22:23]
	v_fmac_f64_e32 v[66:67], v[76:77], v[20:21]
	v_fma_f64 v[76:77], v[78:79], v[20:21], -v[22:23]
	s_waitcnt vmcnt(6) lgkmcnt(10)
	v_mul_f64 v[78:79], v[88:89], v[26:27]
	v_mul_f64 v[20:21], v[86:87], v[26:27]
	ds_read_b128 v[12:15], v107 offset:4608
	ds_read_b128 v[16:19], v107 offset:4864
	v_fmac_f64_e32 v[78:79], v[86:87], v[24:25]
	v_fma_f64 v[86:87], v[88:89], v[24:25], -v[20:21]
	s_waitcnt vmcnt(5) lgkmcnt(9)
	v_mul_f64 v[88:89], v[100:101], v[30:31]
	v_mul_f64 v[20:21], v[98:99], v[30:31]
	v_fmac_f64_e32 v[88:89], v[98:99], v[28:29]
	v_fma_f64 v[98:99], v[100:101], v[28:29], -v[20:21]
	s_waitcnt vmcnt(4) lgkmcnt(8)
	v_mul_f64 v[100:101], v[104:105], v[34:35]
	v_mul_f64 v[20:21], v[102:103], v[34:35]
	;; [unrolled: 5-line block ×4, first 2 shown]
	v_fmac_f64_e32 v[114:115], v[116:117], v[40:41]
	v_fma_f64 v[116:117], v[118:119], v[40:41], -v[20:21]
	s_waitcnt vmcnt(1) lgkmcnt(1)
	v_mul_f64 v[118:119], v[14:15], v[46:47]
	v_fmac_f64_e32 v[118:119], v[12:13], v[44:45]
	v_mul_f64 v[12:13], v[12:13], v[46:47]
	v_fma_f64 v[122:123], v[14:15], v[44:45], -v[12:13]
	s_waitcnt vmcnt(0) lgkmcnt(0)
	v_mul_f64 v[124:125], v[18:19], v[50:51]
	v_mul_f64 v[12:13], v[16:17], v[50:51]
	v_fmac_f64_e32 v[124:125], v[16:17], v[48:49]
	v_fma_f64 v[126:127], v[18:19], v[48:49], -v[12:13]
	v_add_f64 v[12:13], v[52:53], -v[120:121]
	v_add_f64 v[14:15], v[54:55], -v[60:61]
	;; [unrolled: 1-line block ×6, first 2 shown]
	v_fma_f64 v[16:17], v[52:53], 2.0, -v[12:13]
	v_fma_f64 v[18:19], v[54:55], 2.0, -v[14:15]
	v_add_f64 v[20:21], v[56:57], -v[62:63]
	v_add_f64 v[22:23], v[58:59], -v[64:65]
	v_fma_f64 v[32:33], v[68:69], 2.0, -v[28:29]
	v_fma_f64 v[34:35], v[70:71], 2.0, -v[30:31]
	;; [unrolled: 1-line block ×4, first 2 shown]
	v_add_f64 v[44:45], v[90:91], -v[88:89]
	v_add_f64 v[46:47], v[92:93], -v[98:99]
	;; [unrolled: 1-line block ×12, first 2 shown]
	v_fma_f64 v[24:25], v[56:57], 2.0, -v[20:21]
	v_fma_f64 v[26:27], v[58:59], 2.0, -v[22:23]
	;; [unrolled: 1-line block ×14, first 2 shown]
	s_waitcnt lgkmcnt(0)
	; wave barrier
	ds_write_b128 v107, v[16:19]
	ds_write_b128 v107, v[12:15] offset:2560
	ds_write_b128 v107, v[24:27] offset:256
	;; [unrolled: 1-line block ×19, first 2 shown]
	s_waitcnt lgkmcnt(0)
	; wave barrier
	s_waitcnt lgkmcnt(0)
	s_and_saveexec_b64 s[2:3], s[0:1]
	s_cbranch_execz .LBB0_19
; %bb.18:
	v_lshl_add_u32 v10, v82, 4, v83
	ds_read_b128 v[0:3], v10
	ds_read_b128 v[4:7], v10 offset:256
	v_mov_b32_e32 v83, v85
	v_add_u32_e32 v84, 16, v82
	v_lshl_add_u64 v[8:9], v[82:83], 4, v[80:81]
	s_waitcnt lgkmcnt(1)
	global_store_dwordx4 v[8:9], v[0:3], off
	v_lshl_add_u64 v[8:9], v[84:85], 4, v[80:81]
	ds_read_b128 v[0:3], v10 offset:512
	s_waitcnt lgkmcnt(1)
	global_store_dwordx4 v[8:9], v[4:7], off
	ds_read_b128 v[4:7], v10 offset:768
	v_add_u32_e32 v84, 32, v82
	v_lshl_add_u64 v[8:9], v[84:85], 4, v[80:81]
	v_add_u32_e32 v84, 48, v82
	s_waitcnt lgkmcnt(1)
	global_store_dwordx4 v[8:9], v[0:3], off
	v_lshl_add_u64 v[8:9], v[84:85], 4, v[80:81]
	ds_read_b128 v[0:3], v10 offset:1024
	s_waitcnt lgkmcnt(1)
	global_store_dwordx4 v[8:9], v[4:7], off
	ds_read_b128 v[4:7], v10 offset:1280
	v_add_u32_e32 v84, 64, v82
	v_lshl_add_u64 v[8:9], v[84:85], 4, v[80:81]
	v_add_u32_e32 v84, 0x50, v82
	;; [unrolled: 10-line block ×9, first 2 shown]
	s_waitcnt lgkmcnt(1)
	global_store_dwordx4 v[8:9], v[0:3], off
	s_nop 1
	v_lshl_add_u64 v[0:1], v[84:85], 4, v[80:81]
	s_waitcnt lgkmcnt(0)
	global_store_dwordx4 v[0:1], v[4:7], off
.LBB0_19:
	s_endpgm
	.section	.rodata,"a",@progbits
	.p2align	6, 0x0
	.amdhsa_kernel fft_rtc_back_len320_factors_10_4_4_2_wgs_64_tpt_16_halfLds_dp_ip_CI_unitstride_sbrr_C2R_dirReg
		.amdhsa_group_segment_fixed_size 0
		.amdhsa_private_segment_fixed_size 0
		.amdhsa_kernarg_size 88
		.amdhsa_user_sgpr_count 2
		.amdhsa_user_sgpr_dispatch_ptr 0
		.amdhsa_user_sgpr_queue_ptr 0
		.amdhsa_user_sgpr_kernarg_segment_ptr 1
		.amdhsa_user_sgpr_dispatch_id 0
		.amdhsa_user_sgpr_kernarg_preload_length 0
		.amdhsa_user_sgpr_kernarg_preload_offset 0
		.amdhsa_user_sgpr_private_segment_size 0
		.amdhsa_uses_dynamic_stack 0
		.amdhsa_enable_private_segment 0
		.amdhsa_system_sgpr_workgroup_id_x 1
		.amdhsa_system_sgpr_workgroup_id_y 0
		.amdhsa_system_sgpr_workgroup_id_z 0
		.amdhsa_system_sgpr_workgroup_info 0
		.amdhsa_system_vgpr_workitem_id 0
		.amdhsa_next_free_vgpr 134
		.amdhsa_next_free_sgpr 22
		.amdhsa_accum_offset 136
		.amdhsa_reserve_vcc 1
		.amdhsa_float_round_mode_32 0
		.amdhsa_float_round_mode_16_64 0
		.amdhsa_float_denorm_mode_32 3
		.amdhsa_float_denorm_mode_16_64 3
		.amdhsa_dx10_clamp 1
		.amdhsa_ieee_mode 1
		.amdhsa_fp16_overflow 0
		.amdhsa_tg_split 0
		.amdhsa_exception_fp_ieee_invalid_op 0
		.amdhsa_exception_fp_denorm_src 0
		.amdhsa_exception_fp_ieee_div_zero 0
		.amdhsa_exception_fp_ieee_overflow 0
		.amdhsa_exception_fp_ieee_underflow 0
		.amdhsa_exception_fp_ieee_inexact 0
		.amdhsa_exception_int_div_zero 0
	.end_amdhsa_kernel
	.text
.Lfunc_end0:
	.size	fft_rtc_back_len320_factors_10_4_4_2_wgs_64_tpt_16_halfLds_dp_ip_CI_unitstride_sbrr_C2R_dirReg, .Lfunc_end0-fft_rtc_back_len320_factors_10_4_4_2_wgs_64_tpt_16_halfLds_dp_ip_CI_unitstride_sbrr_C2R_dirReg
                                        ; -- End function
	.section	.AMDGPU.csdata,"",@progbits
; Kernel info:
; codeLenInByte = 11020
; NumSgprs: 28
; NumVgprs: 134
; NumAgprs: 0
; TotalNumVgprs: 134
; ScratchSize: 0
; MemoryBound: 0
; FloatMode: 240
; IeeeMode: 1
; LDSByteSize: 0 bytes/workgroup (compile time only)
; SGPRBlocks: 3
; VGPRBlocks: 16
; NumSGPRsForWavesPerEU: 28
; NumVGPRsForWavesPerEU: 134
; AccumOffset: 136
; Occupancy: 3
; WaveLimiterHint : 1
; COMPUTE_PGM_RSRC2:SCRATCH_EN: 0
; COMPUTE_PGM_RSRC2:USER_SGPR: 2
; COMPUTE_PGM_RSRC2:TRAP_HANDLER: 0
; COMPUTE_PGM_RSRC2:TGID_X_EN: 1
; COMPUTE_PGM_RSRC2:TGID_Y_EN: 0
; COMPUTE_PGM_RSRC2:TGID_Z_EN: 0
; COMPUTE_PGM_RSRC2:TIDIG_COMP_CNT: 0
; COMPUTE_PGM_RSRC3_GFX90A:ACCUM_OFFSET: 33
; COMPUTE_PGM_RSRC3_GFX90A:TG_SPLIT: 0
	.text
	.p2alignl 6, 3212836864
	.fill 256, 4, 3212836864
	.type	__hip_cuid_a6cf30ad86816740,@object ; @__hip_cuid_a6cf30ad86816740
	.section	.bss,"aw",@nobits
	.globl	__hip_cuid_a6cf30ad86816740
__hip_cuid_a6cf30ad86816740:
	.byte	0                               ; 0x0
	.size	__hip_cuid_a6cf30ad86816740, 1

	.ident	"AMD clang version 19.0.0git (https://github.com/RadeonOpenCompute/llvm-project roc-6.4.0 25133 c7fe45cf4b819c5991fe208aaa96edf142730f1d)"
	.section	".note.GNU-stack","",@progbits
	.addrsig
	.addrsig_sym __hip_cuid_a6cf30ad86816740
	.amdgpu_metadata
---
amdhsa.kernels:
  - .agpr_count:     0
    .args:
      - .actual_access:  read_only
        .address_space:  global
        .offset:         0
        .size:           8
        .value_kind:     global_buffer
      - .offset:         8
        .size:           8
        .value_kind:     by_value
      - .actual_access:  read_only
        .address_space:  global
        .offset:         16
        .size:           8
        .value_kind:     global_buffer
      - .actual_access:  read_only
        .address_space:  global
        .offset:         24
        .size:           8
        .value_kind:     global_buffer
      - .offset:         32
        .size:           8
        .value_kind:     by_value
      - .actual_access:  read_only
        .address_space:  global
        .offset:         40
        .size:           8
        .value_kind:     global_buffer
      - .actual_access:  read_only
        .address_space:  global
        .offset:         48
        .size:           8
        .value_kind:     global_buffer
      - .offset:         56
        .size:           4
        .value_kind:     by_value
      - .actual_access:  read_only
        .address_space:  global
        .offset:         64
        .size:           8
        .value_kind:     global_buffer
      - .actual_access:  read_only
        .address_space:  global
        .offset:         72
        .size:           8
        .value_kind:     global_buffer
      - .address_space:  global
        .offset:         80
        .size:           8
        .value_kind:     global_buffer
    .group_segment_fixed_size: 0
    .kernarg_segment_align: 8
    .kernarg_segment_size: 88
    .language:       OpenCL C
    .language_version:
      - 2
      - 0
    .max_flat_workgroup_size: 64
    .name:           fft_rtc_back_len320_factors_10_4_4_2_wgs_64_tpt_16_halfLds_dp_ip_CI_unitstride_sbrr_C2R_dirReg
    .private_segment_fixed_size: 0
    .sgpr_count:     28
    .sgpr_spill_count: 0
    .symbol:         fft_rtc_back_len320_factors_10_4_4_2_wgs_64_tpt_16_halfLds_dp_ip_CI_unitstride_sbrr_C2R_dirReg.kd
    .uniform_work_group_size: 1
    .uses_dynamic_stack: false
    .vgpr_count:     134
    .vgpr_spill_count: 0
    .wavefront_size: 64
amdhsa.target:   amdgcn-amd-amdhsa--gfx950
amdhsa.version:
  - 1
  - 2
...

	.end_amdgpu_metadata
